;; amdgpu-corpus repo=ROCm/rocFFT kind=compiled arch=gfx906 opt=O3
	.text
	.amdgcn_target "amdgcn-amd-amdhsa--gfx906"
	.amdhsa_code_object_version 6
	.protected	fft_rtc_fwd_len390_factors_13_3_10_wgs_117_tpt_39_sp_ip_CI_unitstride_sbrr_C2R_dirReg ; -- Begin function fft_rtc_fwd_len390_factors_13_3_10_wgs_117_tpt_39_sp_ip_CI_unitstride_sbrr_C2R_dirReg
	.globl	fft_rtc_fwd_len390_factors_13_3_10_wgs_117_tpt_39_sp_ip_CI_unitstride_sbrr_C2R_dirReg
	.p2align	8
	.type	fft_rtc_fwd_len390_factors_13_3_10_wgs_117_tpt_39_sp_ip_CI_unitstride_sbrr_C2R_dirReg,@function
fft_rtc_fwd_len390_factors_13_3_10_wgs_117_tpt_39_sp_ip_CI_unitstride_sbrr_C2R_dirReg: ; @fft_rtc_fwd_len390_factors_13_3_10_wgs_117_tpt_39_sp_ip_CI_unitstride_sbrr_C2R_dirReg
; %bb.0:
	s_load_dwordx2 s[2:3], s[4:5], 0x50
	s_load_dwordx4 s[8:11], s[4:5], 0x0
	s_load_dwordx2 s[12:13], s[4:5], 0x18
	v_mul_u32_u24_e32 v1, 0x691, v0
	v_lshrrev_b32_e32 v1, 16, v1
	v_mad_u64_u32 v[1:2], s[0:1], s6, 3, v[1:2]
	v_mov_b32_e32 v5, 0
	s_waitcnt lgkmcnt(0)
	v_cmp_lt_u64_e64 s[0:1], s[10:11], 2
	v_mov_b32_e32 v2, v5
	v_mov_b32_e32 v3, 0
	;; [unrolled: 1-line block ×3, first 2 shown]
	s_and_b64 vcc, exec, s[0:1]
	v_mov_b32_e32 v4, 0
	v_mov_b32_e32 v9, v1
	s_cbranch_vccnz .LBB0_8
; %bb.1:
	s_load_dwordx2 s[0:1], s[4:5], 0x10
	s_add_u32 s6, s12, 8
	s_addc_u32 s7, s13, 0
	v_mov_b32_e32 v3, 0
	v_mov_b32_e32 v8, v2
	s_waitcnt lgkmcnt(0)
	s_add_u32 s16, s0, 8
	s_mov_b64 s[14:15], 1
	v_mov_b32_e32 v4, 0
	s_addc_u32 s17, s1, 0
	v_mov_b32_e32 v7, v1
.LBB0_2:                                ; =>This Inner Loop Header: Depth=1
	s_load_dwordx2 s[18:19], s[16:17], 0x0
                                        ; implicit-def: $vgpr9_vgpr10
	s_waitcnt lgkmcnt(0)
	v_or_b32_e32 v6, s19, v8
	v_cmp_ne_u64_e32 vcc, 0, v[5:6]
	s_and_saveexec_b64 s[0:1], vcc
	s_xor_b64 s[20:21], exec, s[0:1]
	s_cbranch_execz .LBB0_4
; %bb.3:                                ;   in Loop: Header=BB0_2 Depth=1
	v_cvt_f32_u32_e32 v2, s18
	v_cvt_f32_u32_e32 v6, s19
	s_sub_u32 s0, 0, s18
	s_subb_u32 s1, 0, s19
	v_mac_f32_e32 v2, 0x4f800000, v6
	v_rcp_f32_e32 v2, v2
	v_mul_f32_e32 v2, 0x5f7ffffc, v2
	v_mul_f32_e32 v6, 0x2f800000, v2
	v_trunc_f32_e32 v6, v6
	v_mac_f32_e32 v2, 0xcf800000, v6
	v_cvt_u32_f32_e32 v6, v6
	v_cvt_u32_f32_e32 v2, v2
	v_mul_lo_u32 v9, s0, v6
	v_mul_hi_u32 v10, s0, v2
	v_mul_lo_u32 v12, s1, v2
	v_mul_lo_u32 v11, s0, v2
	v_add_u32_e32 v9, v10, v9
	v_add_u32_e32 v9, v9, v12
	v_mul_hi_u32 v10, v2, v11
	v_mul_lo_u32 v12, v2, v9
	v_mul_hi_u32 v14, v2, v9
	v_mul_hi_u32 v13, v6, v11
	v_mul_lo_u32 v11, v6, v11
	v_mul_hi_u32 v15, v6, v9
	v_add_co_u32_e32 v10, vcc, v10, v12
	v_addc_co_u32_e32 v12, vcc, 0, v14, vcc
	v_mul_lo_u32 v9, v6, v9
	v_add_co_u32_e32 v10, vcc, v10, v11
	v_addc_co_u32_e32 v10, vcc, v12, v13, vcc
	v_addc_co_u32_e32 v11, vcc, 0, v15, vcc
	v_add_co_u32_e32 v9, vcc, v10, v9
	v_addc_co_u32_e32 v10, vcc, 0, v11, vcc
	v_add_co_u32_e32 v2, vcc, v2, v9
	v_addc_co_u32_e32 v6, vcc, v6, v10, vcc
	v_mul_lo_u32 v9, s0, v6
	v_mul_hi_u32 v10, s0, v2
	v_mul_lo_u32 v11, s1, v2
	v_mul_lo_u32 v12, s0, v2
	v_add_u32_e32 v9, v10, v9
	v_add_u32_e32 v9, v9, v11
	v_mul_lo_u32 v13, v2, v9
	v_mul_hi_u32 v14, v2, v12
	v_mul_hi_u32 v15, v2, v9
	;; [unrolled: 1-line block ×3, first 2 shown]
	v_mul_lo_u32 v12, v6, v12
	v_mul_hi_u32 v10, v6, v9
	v_add_co_u32_e32 v13, vcc, v14, v13
	v_addc_co_u32_e32 v14, vcc, 0, v15, vcc
	v_mul_lo_u32 v9, v6, v9
	v_add_co_u32_e32 v12, vcc, v13, v12
	v_addc_co_u32_e32 v11, vcc, v14, v11, vcc
	v_addc_co_u32_e32 v10, vcc, 0, v10, vcc
	v_add_co_u32_e32 v9, vcc, v11, v9
	v_addc_co_u32_e32 v10, vcc, 0, v10, vcc
	v_add_co_u32_e32 v2, vcc, v2, v9
	v_addc_co_u32_e32 v6, vcc, v6, v10, vcc
	v_mad_u64_u32 v[9:10], s[0:1], v7, v6, 0
	v_mul_hi_u32 v11, v7, v2
	v_add_co_u32_e32 v13, vcc, v11, v9
	v_addc_co_u32_e32 v14, vcc, 0, v10, vcc
	v_mad_u64_u32 v[9:10], s[0:1], v8, v2, 0
	v_mad_u64_u32 v[11:12], s[0:1], v8, v6, 0
	v_add_co_u32_e32 v2, vcc, v13, v9
	v_addc_co_u32_e32 v2, vcc, v14, v10, vcc
	v_addc_co_u32_e32 v6, vcc, 0, v12, vcc
	v_add_co_u32_e32 v2, vcc, v2, v11
	v_addc_co_u32_e32 v6, vcc, 0, v6, vcc
	v_mul_lo_u32 v11, s19, v2
	v_mul_lo_u32 v12, s18, v6
	v_mad_u64_u32 v[9:10], s[0:1], s18, v2, 0
	v_add3_u32 v10, v10, v12, v11
	v_sub_u32_e32 v11, v8, v10
	v_mov_b32_e32 v12, s19
	v_sub_co_u32_e32 v9, vcc, v7, v9
	v_subb_co_u32_e64 v11, s[0:1], v11, v12, vcc
	v_subrev_co_u32_e64 v12, s[0:1], s18, v9
	v_subbrev_co_u32_e64 v11, s[0:1], 0, v11, s[0:1]
	v_cmp_le_u32_e64 s[0:1], s19, v11
	v_cndmask_b32_e64 v13, 0, -1, s[0:1]
	v_cmp_le_u32_e64 s[0:1], s18, v12
	v_cndmask_b32_e64 v12, 0, -1, s[0:1]
	v_cmp_eq_u32_e64 s[0:1], s19, v11
	v_cndmask_b32_e64 v11, v13, v12, s[0:1]
	v_add_co_u32_e64 v12, s[0:1], 2, v2
	v_addc_co_u32_e64 v13, s[0:1], 0, v6, s[0:1]
	v_add_co_u32_e64 v14, s[0:1], 1, v2
	v_addc_co_u32_e64 v15, s[0:1], 0, v6, s[0:1]
	v_subb_co_u32_e32 v10, vcc, v8, v10, vcc
	v_cmp_ne_u32_e64 s[0:1], 0, v11
	v_cmp_le_u32_e32 vcc, s19, v10
	v_cndmask_b32_e64 v11, v15, v13, s[0:1]
	v_cndmask_b32_e64 v13, 0, -1, vcc
	v_cmp_le_u32_e32 vcc, s18, v9
	v_cndmask_b32_e64 v9, 0, -1, vcc
	v_cmp_eq_u32_e32 vcc, s19, v10
	v_cndmask_b32_e32 v9, v13, v9, vcc
	v_cmp_ne_u32_e32 vcc, 0, v9
	v_cndmask_b32_e32 v10, v6, v11, vcc
	v_cndmask_b32_e64 v6, v14, v12, s[0:1]
	v_cndmask_b32_e32 v9, v2, v6, vcc
.LBB0_4:                                ;   in Loop: Header=BB0_2 Depth=1
	s_andn2_saveexec_b64 s[0:1], s[20:21]
	s_cbranch_execz .LBB0_6
; %bb.5:                                ;   in Loop: Header=BB0_2 Depth=1
	v_cvt_f32_u32_e32 v2, s18
	s_sub_i32 s20, 0, s18
	v_rcp_iflag_f32_e32 v2, v2
	v_mul_f32_e32 v2, 0x4f7ffffe, v2
	v_cvt_u32_f32_e32 v2, v2
	v_mul_lo_u32 v6, s20, v2
	v_mul_hi_u32 v6, v2, v6
	v_add_u32_e32 v2, v2, v6
	v_mul_hi_u32 v2, v7, v2
	v_mul_lo_u32 v6, v2, s18
	v_add_u32_e32 v9, 1, v2
	v_sub_u32_e32 v6, v7, v6
	v_subrev_u32_e32 v10, s18, v6
	v_cmp_le_u32_e32 vcc, s18, v6
	v_cndmask_b32_e32 v6, v6, v10, vcc
	v_cndmask_b32_e32 v2, v2, v9, vcc
	v_add_u32_e32 v9, 1, v2
	v_cmp_le_u32_e32 vcc, s18, v6
	v_cndmask_b32_e32 v9, v2, v9, vcc
	v_mov_b32_e32 v10, v5
.LBB0_6:                                ;   in Loop: Header=BB0_2 Depth=1
	s_or_b64 exec, exec, s[0:1]
	v_mul_lo_u32 v2, v10, s18
	v_mul_lo_u32 v6, v9, s19
	v_mad_u64_u32 v[11:12], s[0:1], v9, s18, 0
	s_load_dwordx2 s[0:1], s[6:7], 0x0
	s_add_u32 s14, s14, 1
	v_add3_u32 v2, v12, v6, v2
	v_sub_co_u32_e32 v6, vcc, v7, v11
	v_subb_co_u32_e32 v2, vcc, v8, v2, vcc
	s_waitcnt lgkmcnt(0)
	v_mul_lo_u32 v2, s0, v2
	v_mul_lo_u32 v7, s1, v6
	v_mad_u64_u32 v[3:4], s[0:1], s0, v6, v[3:4]
	s_addc_u32 s15, s15, 0
	s_add_u32 s6, s6, 8
	v_add3_u32 v4, v7, v4, v2
	v_mov_b32_e32 v6, s10
	v_mov_b32_e32 v7, s11
	s_addc_u32 s7, s7, 0
	v_cmp_ge_u64_e32 vcc, s[14:15], v[6:7]
	s_add_u32 s16, s16, 8
	s_addc_u32 s17, s17, 0
	s_cbranch_vccnz .LBB0_8
; %bb.7:                                ;   in Loop: Header=BB0_2 Depth=1
	v_mov_b32_e32 v7, v9
	v_mov_b32_e32 v8, v10
	s_branch .LBB0_2
.LBB0_8:
	s_lshl_b64 s[0:1], s[10:11], 3
	s_add_u32 s0, s12, s0
	s_addc_u32 s1, s13, s1
	s_load_dwordx2 s[0:1], s[0:1], 0x0
	s_mov_b32 s6, 0xaaaaaaab
	v_mul_hi_u32 v2, v1, s6
	s_waitcnt lgkmcnt(0)
	v_mul_lo_u32 v5, s0, v10
	v_mul_lo_u32 v6, s1, v9
	v_mad_u64_u32 v[3:4], s[0:1], s0, v9, v[3:4]
	s_load_dwordx2 s[0:1], s[4:5], 0x20
	s_mov_b32 s4, 0x6906907
	v_add3_u32 v4, v6, v4, v5
	v_mul_hi_u32 v5, v0, s4
	v_lshrrev_b32_e32 v2, 1, v2
	v_lshl_add_u32 v2, v2, 1, v2
	v_sub_u32_e32 v1, v1, v2
	v_mul_u32_u24_e32 v2, 0x187, v1
	s_waitcnt lgkmcnt(0)
	v_cmp_gt_u64_e32 vcc, s[0:1], v[9:10]
	v_mul_u32_u24_e32 v1, 39, v5
	v_lshlrev_b64 v[26:27], 3, v[3:4]
	v_sub_u32_e32 v24, v0, v1
	v_lshlrev_b32_e32 v38, 3, v2
	s_and_saveexec_b64 s[4:5], vcc
	s_cbranch_execz .LBB0_12
; %bb.9:
	v_mov_b32_e32 v25, 0
	v_mov_b32_e32 v1, s3
	v_add_co_u32_e64 v0, s[0:1], s2, v26
	v_lshlrev_b64 v[3:4], 3, v[24:25]
	v_addc_co_u32_e64 v1, s[0:1], v1, v27, s[0:1]
	v_add_co_u32_e64 v3, s[0:1], v0, v3
	v_addc_co_u32_e64 v4, s[0:1], v1, v4, s[0:1]
	global_load_dwordx2 v[5:6], v[3:4], off
	global_load_dwordx2 v[7:8], v[3:4], off offset:312
	global_load_dwordx2 v[9:10], v[3:4], off offset:624
	;; [unrolled: 1-line block ×9, first 2 shown]
	v_lshlrev_b32_e32 v3, 3, v24
	v_add3_u32 v3, 0, v38, v3
	v_cmp_eq_u32_e64 s[0:1], 38, v24
	v_add_u32_e32 v4, 0x400, v3
	v_add_u32_e32 v23, 0x800, v3
	s_waitcnt vmcnt(8)
	ds_write2_b64 v3, v[5:6], v[7:8] offset1:39
	s_waitcnt vmcnt(6)
	ds_write2_b64 v3, v[9:10], v[11:12] offset0:78 offset1:117
	s_waitcnt vmcnt(4)
	ds_write2_b64 v3, v[13:14], v[15:16] offset0:156 offset1:195
	;; [unrolled: 2-line block ×4, first 2 shown]
	s_and_saveexec_b64 s[6:7], s[0:1]
	s_cbranch_execz .LBB0_11
; %bb.10:
	global_load_dwordx2 v[0:1], v[0:1], off offset:3120
	v_mov_b32_e32 v24, 38
	s_waitcnt vmcnt(0)
	ds_write_b64 v3, v[0:1] offset:2816
.LBB0_11:
	s_or_b64 exec, exec, s[6:7]
.LBB0_12:
	s_or_b64 exec, exec, s[4:5]
	v_lshl_add_u32 v36, v2, 3, 0
	v_lshlrev_b32_e32 v5, 3, v24
	v_add_u32_e32 v37, v36, v5
	s_waitcnt lgkmcnt(0)
	s_barrier
	v_sub_u32_e32 v4, v36, v5
	ds_read_b32 v6, v37
	ds_read_b32 v7, v4 offset:3120
	v_cmp_ne_u32_e64 s[0:1], 0, v24
                                        ; implicit-def: $vgpr2_vgpr3
	s_waitcnt lgkmcnt(0)
	v_add_f32_e32 v0, v7, v6
	v_sub_f32_e32 v1, v6, v7
	s_and_saveexec_b64 s[4:5], s[0:1]
	s_xor_b64 s[4:5], exec, s[4:5]
	s_cbranch_execz .LBB0_14
; %bb.13:
	v_mov_b32_e32 v25, 0
	v_lshlrev_b64 v[0:1], 3, v[24:25]
	v_mov_b32_e32 v2, s9
	v_add_co_u32_e64 v0, s[0:1], s8, v0
	v_addc_co_u32_e64 v1, s[0:1], v2, v1, s[0:1]
	global_load_dwordx2 v[2:3], v[0:1], off offset:3016
	ds_read_b32 v0, v4 offset:3124
	ds_read_b32 v1, v37 offset:4
	v_add_f32_e32 v8, v7, v6
	v_sub_f32_e32 v9, v6, v7
	s_waitcnt lgkmcnt(0)
	v_add_f32_e32 v10, v0, v1
	v_sub_f32_e32 v0, v1, v0
	s_waitcnt vmcnt(0)
	v_fma_f32 v11, v9, v3, v8
	v_fma_f32 v1, v10, v3, v0
	v_fma_f32 v6, -v9, v3, v8
	v_fma_f32 v7, v10, v3, -v0
	v_fma_f32 v0, -v2, v10, v11
	v_fmac_f32_e32 v1, v9, v2
	v_fmac_f32_e32 v6, v2, v10
	;; [unrolled: 1-line block ×3, first 2 shown]
	v_mov_b32_e32 v2, v24
	ds_write_b64 v4, v[6:7] offset:3120
	v_mov_b32_e32 v3, v25
.LBB0_14:
	s_andn2_saveexec_b64 s[0:1], s[4:5]
	s_cbranch_execz .LBB0_16
; %bb.15:
	ds_read_b64 v[2:3], v36 offset:1560
	s_waitcnt lgkmcnt(0)
	v_add_f32_e32 v6, v2, v2
	v_mul_f32_e32 v7, -2.0, v3
	v_mov_b32_e32 v2, 0
	v_mov_b32_e32 v3, 0
	ds_write_b64 v36, v[6:7] offset:1560
.LBB0_16:
	s_or_b64 exec, exec, s[0:1]
	s_add_u32 s0, s8, 0xbc8
	v_lshlrev_b64 v[2:3], 3, v[2:3]
	s_addc_u32 s1, s9, 0
	v_mov_b32_e32 v6, s1
	v_add_co_u32_e64 v2, s[0:1], s0, v2
	v_addc_co_u32_e64 v3, s[0:1], v6, v3, s[0:1]
	global_load_dwordx2 v[6:7], v[2:3], off offset:312
	global_load_dwordx2 v[8:9], v[2:3], off offset:624
	;; [unrolled: 1-line block ×4, first 2 shown]
	ds_write_b64 v37, v[0:1]
	ds_read_b64 v[0:1], v37 offset:312
	ds_read_b64 v[2:3], v4 offset:2808
	v_add3_u32 v25, 0, v5, v38
	v_add_u32_e32 v39, 0x800, v25
	s_mov_b32 s6, 0x3f116cb1
	s_mov_b32 s7, 0xbeb58ec6
	s_waitcnt lgkmcnt(0)
	v_add_f32_e32 v14, v0, v2
	v_add_f32_e32 v15, v3, v1
	v_sub_f32_e32 v16, v0, v2
	v_sub_f32_e32 v0, v1, v3
	s_mov_b32 s10, 0xbf788fa5
	s_mov_b32 s11, 0xbf3f9e67
	;; [unrolled: 1-line block ×4, first 2 shown]
	v_cmp_gt_u32_e64 s[0:1], 30, v24
	s_waitcnt vmcnt(3)
	v_fma_f32 v17, v16, v7, v14
	v_fma_f32 v1, v15, v7, v0
	v_fma_f32 v2, -v16, v7, v14
	v_fma_f32 v3, v15, v7, -v0
	v_fma_f32 v0, -v6, v15, v17
	v_fmac_f32_e32 v1, v16, v6
	v_fmac_f32_e32 v2, v6, v15
	v_fmac_f32_e32 v3, v16, v6
	ds_write_b64 v37, v[0:1] offset:312
	ds_write_b64 v4, v[2:3] offset:2808
	ds_read_b64 v[0:1], v37 offset:624
	ds_read_b64 v[2:3], v4 offset:2496
	s_waitcnt lgkmcnt(0)
	v_add_f32_e32 v6, v0, v2
	v_add_f32_e32 v7, v3, v1
	v_sub_f32_e32 v14, v0, v2
	v_sub_f32_e32 v0, v1, v3
	s_waitcnt vmcnt(2)
	v_fma_f32 v15, v14, v9, v6
	v_fma_f32 v1, v7, v9, v0
	v_fma_f32 v2, -v14, v9, v6
	v_fma_f32 v3, v7, v9, -v0
	v_fma_f32 v0, -v8, v7, v15
	v_fmac_f32_e32 v1, v14, v8
	v_fmac_f32_e32 v2, v8, v7
	v_fmac_f32_e32 v3, v14, v8
	ds_write_b64 v37, v[0:1] offset:624
	ds_write_b64 v4, v[2:3] offset:2496
	ds_read_b64 v[0:1], v37 offset:936
	ds_read_b64 v[2:3], v4 offset:2184
	s_waitcnt lgkmcnt(0)
	v_add_f32_e32 v6, v0, v2
	v_add_f32_e32 v7, v3, v1
	v_sub_f32_e32 v8, v0, v2
	v_sub_f32_e32 v0, v1, v3
	;; [unrolled: 18-line block ×3, first 2 shown]
	s_waitcnt vmcnt(0)
	v_fma_f32 v8, v7, v13, v5
	v_fma_f32 v1, v6, v13, v0
	v_fma_f32 v2, -v7, v13, v5
	v_fma_f32 v3, v6, v13, -v0
	v_fma_f32 v0, -v12, v6, v8
	v_fmac_f32_e32 v1, v7, v12
	v_fmac_f32_e32 v2, v12, v6
	;; [unrolled: 1-line block ×3, first 2 shown]
	ds_write_b64 v37, v[0:1] offset:1248
	ds_write_b64 v4, v[2:3] offset:1872
	s_waitcnt lgkmcnt(0)
	s_barrier
	s_barrier
	ds_read2_b64 v[4:7], v25 offset0:30 offset1:60
	ds_read2_b64 v[0:3], v39 offset0:74 offset1:104
	ds_read_b64 v[34:35], v37
	ds_read2_b64 v[12:15], v25 offset0:90 offset1:120
	ds_read2_b64 v[8:11], v39 offset0:14 offset1:44
	s_waitcnt lgkmcnt(3)
	v_sub_f32_e32 v55, v4, v2
	v_sub_f32_e32 v51, v5, v3
	v_add_f32_e32 v43, v3, v5
	v_sub_f32_e32 v56, v6, v0
	v_sub_f32_e32 v53, v7, v1
	v_mul_f32_e32 v59, 0xbf52af12, v51
	v_mul_f32_e32 v63, 0xbf52af12, v55
	v_add_f32_e32 v40, v2, v4
	v_add_f32_e32 v44, v1, v7
	s_waitcnt lgkmcnt(0)
	v_sub_f32_e32 v52, v13, v11
	v_sub_f32_e32 v57, v12, v10
	v_mul_f32_e32 v62, 0xbf6f5d39, v56
	v_mul_f32_e32 v61, 0xbf6f5d39, v53
	v_fma_f32 v16, v43, s6, -v63
	v_mov_b32_e32 v18, v59
	v_add_f32_e32 v41, v0, v6
	v_add_f32_e32 v45, v11, v13
	v_mul_f32_e32 v60, 0xbe750f2a, v52
	v_mul_f32_e32 v64, 0xbe750f2a, v57
	v_fma_f32 v17, v44, s7, -v62
	v_mov_b32_e32 v19, v61
	v_add_f32_e32 v16, v35, v16
	v_fmac_f32_e32 v18, 0x3f116cb1, v40
	v_sub_f32_e32 v58, v15, v9
	v_add_f32_e32 v42, v10, v12
	v_mov_b32_e32 v20, v60
	v_fma_f32 v21, v45, s10, -v64
	v_fmac_f32_e32 v19, 0xbeb58ec6, v41
	v_add_f32_e32 v16, v17, v16
	v_add_f32_e32 v17, v34, v18
	v_mul_f32_e32 v67, 0x3f29c268, v58
	v_fmac_f32_e32 v20, 0xbf788fa5, v42
	v_add_f32_e32 v17, v19, v17
	v_add_f32_e32 v28, v21, v16
	;; [unrolled: 1-line block ×3, first 2 shown]
	v_mov_b32_e32 v16, v67
	v_add_f32_e32 v17, v20, v17
	v_fmac_f32_e32 v16, 0xbf3f9e67, v46
	v_add_f32_e32 v29, v16, v17
	ds_read2_b64 v[20:23], v25 offset0:150 offset1:180
	ds_read2_b64 v[16:19], v25 offset0:210 offset1:240
	v_sub_f32_e32 v66, v14, v8
	v_add_f32_e32 v47, v9, v15
	v_mul_f32_e32 v70, 0x3f29c268, v66
	v_fma_f32 v30, v47, s11, -v70
	s_waitcnt lgkmcnt(0)
	v_sub_f32_e32 v65, v21, v19
	v_mul_f32_e32 v71, 0x3f7e222b, v65
	v_add_f32_e32 v28, v30, v28
	v_add_f32_e32 v48, v18, v20
	v_mov_b32_e32 v30, v71
	v_sub_f32_e32 v69, v20, v18
	v_fmac_f32_e32 v30, 0x3df6dbef, v48
	v_add_f32_e32 v49, v19, v21
	v_mul_f32_e32 v73, 0x3f7e222b, v69
	v_sub_f32_e32 v68, v23, v17
	v_add_f32_e32 v29, v30, v29
	v_fma_f32 v30, v49, s12, -v73
	v_mul_f32_e32 v74, 0x3eedf032, v68
	v_add_f32_e32 v30, v30, v28
	v_add_f32_e32 v50, v16, v22
	v_mov_b32_e32 v28, v74
	v_sub_f32_e32 v72, v22, v16
	v_fmac_f32_e32 v28, 0x3f62ad3f, v50
	v_add_f32_e32 v54, v17, v23
	v_mul_f32_e32 v75, 0x3eedf032, v72
	v_add_f32_e32 v28, v28, v29
	v_fma_f32 v29, v54, s13, -v75
	v_mul_f32_e32 v76, 0xbf7e222b, v51
	v_add_f32_e32 v29, v29, v30
	v_mov_b32_e32 v30, v76
	v_mul_f32_e32 v77, 0xbe750f2a, v53
	v_fmac_f32_e32 v30, 0x3df6dbef, v40
	v_mov_b32_e32 v31, v77
	v_add_f32_e32 v30, v34, v30
	v_fmac_f32_e32 v31, 0xbf788fa5, v41
	v_mul_f32_e32 v84, 0xbf7e222b, v55
	v_add_f32_e32 v30, v31, v30
	v_fma_f32 v31, v43, s12, -v84
	v_mul_f32_e32 v82, 0xbe750f2a, v56
	v_add_f32_e32 v31, v35, v31
	v_fma_f32 v32, v44, s10, -v82
	v_mul_f32_e32 v78, 0x3f6f5d39, v52
	v_add_f32_e32 v31, v32, v31
	v_mov_b32_e32 v32, v78
	v_fmac_f32_e32 v32, 0xbeb58ec6, v42
	v_mul_f32_e32 v83, 0x3f6f5d39, v57
	v_add_f32_e32 v30, v32, v30
	v_fma_f32 v32, v45, s7, -v83
	v_mul_f32_e32 v79, 0x3eedf032, v58
	v_add_f32_e32 v31, v32, v31
	v_mov_b32_e32 v32, v79
	v_fmac_f32_e32 v32, 0x3f62ad3f, v46
	;; [unrolled: 7-line block ×4, first 2 shown]
	v_mul_f32_e32 v87, 0xbf29c268, v72
	v_add_f32_e32 v30, v32, v30
	v_fma_f32 v32, v54, s11, -v87
	v_mul_f32_e32 v88, 0xbf6f5d39, v51
	v_add_f32_e32 v31, v32, v31
	v_mov_b32_e32 v32, v88
	v_mul_f32_e32 v89, 0x3f29c268, v53
	v_fmac_f32_e32 v32, 0xbeb58ec6, v40
	v_mov_b32_e32 v33, v89
	v_add_f32_e32 v32, v34, v32
	v_fmac_f32_e32 v33, 0xbf3f9e67, v41
	v_mul_f32_e32 v94, 0xbf6f5d39, v55
	v_add_f32_e32 v32, v33, v32
	v_fma_f32 v33, v43, s7, -v94
	v_mul_f32_e32 v95, 0x3f29c268, v56
	v_add_f32_e32 v33, v35, v33
	v_fma_f32 v90, v44, s11, -v95
	v_add_f32_e32 v33, v90, v33
	v_mul_f32_e32 v90, 0x3eedf032, v52
	v_mov_b32_e32 v91, v90
	v_fmac_f32_e32 v91, 0x3f62ad3f, v42
	v_mul_f32_e32 v96, 0x3eedf032, v57
	v_add_f32_e32 v32, v91, v32
	v_fma_f32 v91, v45, s13, -v96
	v_add_f32_e32 v33, v91, v33
	v_mul_f32_e32 v91, 0xbf7e222b, v58
	v_mov_b32_e32 v92, v91
	v_fmac_f32_e32 v92, 0x3df6dbef, v46
	;; [unrolled: 7-line block ×4, first 2 shown]
	v_add_f32_e32 v32, v99, v32
	v_mul_f32_e32 v99, 0x3f52af12, v72
	v_fma_f32 v100, v54, s6, -v99
	v_add_f32_e32 v33, v100, v33
	s_barrier
	s_and_saveexec_b64 s[4:5], s[0:1]
	s_cbranch_execz .LBB0_18
; %bb.17:
	v_mul_f32_e32 v104, 0xbe750f2a, v55
	v_mov_b32_e32 v100, v104
	v_mul_f32_e32 v105, 0x3eedf032, v56
	v_fmac_f32_e32 v100, 0xbf788fa5, v43
	v_mov_b32_e32 v101, v105
	v_add_f32_e32 v100, v35, v100
	v_fmac_f32_e32 v101, 0x3f62ad3f, v44
	v_mul_f32_e32 v106, 0xbf29c268, v57
	v_add_f32_e32 v100, v101, v100
	v_mov_b32_e32 v101, v106
	v_fmac_f32_e32 v101, 0xbf3f9e67, v45
	v_mul_f32_e32 v107, 0x3f52af12, v66
	v_add_f32_e32 v100, v101, v100
	v_mov_b32_e32 v101, v107
	;; [unrolled: 4-line block ×4, first 2 shown]
	v_fmac_f32_e32 v101, 0x3df6dbef, v54
	v_mul_f32_e32 v110, 0xbe750f2a, v51
	v_add_f32_e32 v101, v101, v100
	v_fma_f32 v100, v40, s10, -v110
	v_mul_f32_e32 v111, 0x3eedf032, v53
	v_add_f32_e32 v100, v34, v100
	v_fma_f32 v102, v41, s13, -v111
	;; [unrolled: 3-line block ×6, first 2 shown]
	v_mul_f32_e32 v116, 0xbf29c268, v55
	v_add_f32_e32 v100, v102, v100
	v_mov_b32_e32 v102, v116
	v_mul_f32_e32 v117, 0x3f7e222b, v56
	v_fmac_f32_e32 v102, 0xbf3f9e67, v43
	v_mov_b32_e32 v103, v117
	v_add_f32_e32 v102, v35, v102
	v_fmac_f32_e32 v103, 0x3df6dbef, v44
	v_mul_f32_e32 v118, 0xbf52af12, v57
	v_add_f32_e32 v102, v103, v102
	v_mov_b32_e32 v103, v118
	v_fmac_f32_e32 v103, 0x3f116cb1, v45
	v_mul_f32_e32 v119, 0x3e750f2a, v66
	v_add_f32_e32 v102, v103, v102
	v_mov_b32_e32 v103, v119
	v_fmac_f32_e32 v103, 0xbf788fa5, v47
	v_mul_f32_e32 v120, 0x3eedf032, v69
	v_add_f32_e32 v102, v103, v102
	v_mov_b32_e32 v103, v120
	v_fmac_f32_e32 v103, 0x3f62ad3f, v49
	v_mul_f32_e32 v121, 0xbf29c268, v51
	v_add_f32_e32 v102, v103, v102
	v_fma_f32 v103, v40, s11, -v121
	v_mul_f32_e32 v122, 0x3f7e222b, v53
	v_add_f32_e32 v103, v34, v103
	v_fma_f32 v123, v41, s12, -v122
	v_add_f32_e32 v103, v123, v103
	v_mul_f32_e32 v123, 0xbf52af12, v52
	v_fma_f32 v124, v42, s6, -v123
	v_add_f32_e32 v103, v124, v103
	v_mul_f32_e32 v124, 0x3e750f2a, v58
	;; [unrolled: 3-line block ×3, first 2 shown]
	v_fma_f32 v126, v48, s13, -v125
	v_mul_f32_e32 v127, 0xbf6f5d39, v72
	v_add_f32_e32 v126, v126, v103
	v_mov_b32_e32 v103, v127
	v_fmac_f32_e32 v103, 0xbeb58ec6, v54
	v_mul_f32_e32 v128, 0xbf6f5d39, v68
	v_add_f32_e32 v103, v103, v102
	v_fma_f32 v102, v50, s7, -v128
	v_add_f32_e32 v102, v102, v126
	v_mul_f32_e32 v126, 0xbeb58ec6, v43
	v_add_f32_e32 v94, v94, v126
	v_mul_f32_e32 v126, 0xbf3f9e67, v44
	v_add_f32_e32 v95, v95, v126
	v_add_f32_e32 v94, v35, v94
	;; [unrolled: 1-line block ×3, first 2 shown]
	v_mul_f32_e32 v95, 0x3f62ad3f, v45
	v_add_f32_e32 v95, v96, v95
	v_mul_f32_e32 v96, 0xbeb58ec6, v40
	v_sub_f32_e32 v88, v96, v88
	v_mul_f32_e32 v96, 0xbf3f9e67, v41
	v_sub_f32_e32 v89, v96, v89
	v_add_f32_e32 v88, v34, v88
	v_add_f32_e32 v88, v89, v88
	v_mul_f32_e32 v89, 0x3f62ad3f, v42
	v_sub_f32_e32 v89, v89, v90
	v_add_f32_e32 v88, v89, v88
	v_mul_f32_e32 v89, 0x3df6dbef, v46
	v_sub_f32_e32 v89, v89, v91
	;; [unrolled: 3-line block ×4, first 2 shown]
	v_mul_f32_e32 v93, 0x3df6dbef, v43
	v_add_f32_e32 v5, v35, v5
	v_add_f32_e32 v84, v84, v93
	v_mul_f32_e32 v93, 0xbf788fa5, v44
	v_add_f32_e32 v5, v5, v7
	v_add_f32_e32 v82, v82, v93
	;; [unrolled: 1-line block ×5, first 2 shown]
	v_mul_f32_e32 v84, 0xbeb58ec6, v45
	v_add_f32_e32 v5, v5, v15
	v_add_f32_e32 v83, v83, v84
	;; [unrolled: 1-line block ×4, first 2 shown]
	v_mul_f32_e32 v83, 0x3f62ad3f, v47
	v_add_f32_e32 v5, v5, v23
	v_mul_f32_e32 v90, 0x3f116cb1, v40
	v_add_f32_e32 v83, v85, v83
	v_add_f32_e32 v5, v5, v17
	v_add_f32_e32 v88, v91, v88
	v_mul_f32_e32 v91, 0x3df6dbef, v40
	v_mul_f32_e32 v93, 0xbeb58ec6, v41
	v_add_f32_e32 v82, v83, v82
	v_mul_f32_e32 v83, 0x3f116cb1, v49
	v_sub_f32_e32 v59, v90, v59
	v_add_f32_e32 v5, v5, v19
	v_add_f32_e32 v94, v95, v94
	v_mul_f32_e32 v95, 0x3df6dbef, v47
	v_mul_f32_e32 v85, 0xbf788fa5, v41
	v_add_f32_e32 v83, v86, v83
	v_mul_f32_e32 v86, 0xbf788fa5, v42
	v_sub_f32_e32 v76, v91, v76
	v_add_f32_e32 v59, v34, v59
	v_sub_f32_e32 v61, v93, v61
	v_add_f32_e32 v5, v5, v9
	v_add_f32_e32 v95, v97, v95
	v_mul_f32_e32 v91, 0xbeb58ec6, v42
	v_sub_f32_e32 v77, v85, v77
	v_mul_f32_e32 v85, 0xbf3f9e67, v46
	v_add_f32_e32 v76, v34, v76
	v_add_f32_e32 v59, v61, v59
	v_sub_f32_e32 v60, v86, v60
	v_add_f32_e32 v5, v5, v11
	v_add_f32_e32 v94, v95, v94
	v_mul_f32_e32 v95, 0xbf788fa5, v49
	v_add_f32_e32 v76, v77, v76
	v_sub_f32_e32 v77, v91, v78
	v_mul_f32_e32 v78, 0x3f62ad3f, v46
	v_mul_f32_e32 v91, 0x3df6dbef, v48
	v_add_f32_e32 v59, v60, v59
	v_sub_f32_e32 v60, v85, v67
	v_add_f32_e32 v1, v5, v1
	v_add_f32_e32 v95, v98, v95
	v_mul_f32_e32 v92, 0x3f116cb1, v43
	v_add_f32_e32 v76, v77, v76
	v_sub_f32_e32 v77, v78, v79
	v_mul_f32_e32 v79, 0x3f62ad3f, v50
	v_add_f32_e32 v59, v60, v59
	v_sub_f32_e32 v60, v91, v71
	v_add_f32_e32 v1, v1, v3
	v_add_f32_e32 v3, v34, v4
	;; [unrolled: 1-line block ×3, first 2 shown]
	v_mul_f32_e32 v95, 0x3f116cb1, v54
	v_mul_f32_e32 v84, 0xbeb58ec6, v44
	v_add_f32_e32 v82, v83, v82
	v_mul_f32_e32 v83, 0xbf3f9e67, v54
	v_add_f32_e32 v63, v63, v92
	v_add_f32_e32 v59, v60, v59
	v_sub_f32_e32 v60, v79, v74
	v_add_f32_e32 v3, v3, v6
	v_add_f32_e32 v95, v99, v95
	;; [unrolled: 1-line block ×3, first 2 shown]
	v_mul_f32_e32 v87, 0xbf788fa5, v45
	v_add_f32_e32 v76, v77, v76
	v_mul_f32_e32 v77, 0x3f116cb1, v48
	v_add_f32_e32 v63, v35, v63
	v_add_f32_e32 v62, v62, v84
	;; [unrolled: 1-line block ×3, first 2 shown]
	v_mul_f32_e32 v59, 0xbeedf032, v55
	v_add_f32_e32 v3, v3, v12
	v_add_f32_e32 v89, v95, v94
	v_mul_f32_e32 v94, 0xbf3f9e67, v47
	v_sub_f32_e32 v77, v77, v80
	v_add_f32_e32 v62, v62, v63
	v_add_f32_e32 v63, v64, v87
	v_mov_b32_e32 v55, v59
	v_mul_f32_e32 v60, 0xbf52af12, v56
	v_add_f32_e32 v3, v3, v14
	v_mul_f32_e32 v78, 0x3df6dbef, v49
	v_add_f32_e32 v76, v77, v76
	v_mul_f32_e32 v77, 0xbf3f9e67, v50
	v_add_f32_e32 v62, v63, v62
	v_add_f32_e32 v63, v70, v94
	v_fmac_f32_e32 v55, 0x3f62ad3f, v43
	v_mov_b32_e32 v56, v60
	v_add_f32_e32 v3, v3, v20
	v_sub_f32_e32 v80, v77, v81
	v_mul_f32_e32 v81, 0x3f62ad3f, v54
	v_add_f32_e32 v62, v63, v62
	v_add_f32_e32 v63, v73, v78
	;; [unrolled: 1-line block ×3, first 2 shown]
	v_fmac_f32_e32 v56, 0x3f116cb1, v44
	v_mul_f32_e32 v57, 0xbf7e222b, v57
	v_add_f32_e32 v3, v3, v22
	v_add_f32_e32 v62, v63, v62
	;; [unrolled: 1-line block ×4, first 2 shown]
	v_mov_b32_e32 v56, v57
	v_add_f32_e32 v3, v3, v16
	v_add_f32_e32 v62, v63, v62
	v_fmac_f32_e32 v56, 0x3df6dbef, v45
	v_mul_f32_e32 v63, 0xbf6f5d39, v66
	v_add_f32_e32 v3, v3, v18
	v_add_f32_e32 v55, v56, v55
	v_mov_b32_e32 v56, v63
	v_add_f32_e32 v3, v3, v8
	v_fmac_f32_e32 v56, 0xbeb58ec6, v47
	v_mul_f32_e32 v64, 0xbf29c268, v69
	v_add_f32_e32 v3, v3, v10
	v_add_f32_e32 v55, v56, v55
	v_mov_b32_e32 v56, v64
	v_add_f32_e32 v0, v3, v0
	v_fmac_f32_e32 v56, 0xbf3f9e67, v49
	v_mul_f32_e32 v66, 0xbe750f2a, v72
	v_add_f32_e32 v0, v0, v2
	v_fma_f32 v2, v43, s10, -v104
	v_fma_f32 v4, v43, s11, -v116
	;; [unrolled: 1-line block ×3, first 2 shown]
	v_add_f32_e32 v55, v56, v55
	v_mov_b32_e32 v56, v66
	v_add_f32_e32 v2, v35, v2
	v_fma_f32 v3, v44, s13, -v105
	v_add_f32_e32 v4, v35, v4
	v_fma_f32 v5, v44, s12, -v117
	;; [unrolled: 2-line block ×3, first 2 shown]
	v_fmac_f32_e32 v56, 0xbf788fa5, v54
	v_mul_f32_e32 v51, 0xbeedf032, v51
	v_add_f32_e32 v2, v3, v2
	v_fma_f32 v3, v45, s11, -v106
	v_add_f32_e32 v4, v5, v4
	v_fma_f32 v5, v45, s6, -v118
	v_add_f32_e32 v6, v7, v6
	v_fma_f32 v7, v45, s12, -v57
	v_add_f32_e32 v56, v56, v55
	v_fma_f32 v55, v40, s13, -v51
	v_mul_f32_e32 v53, 0xbf52af12, v53
	v_add_f32_e32 v2, v3, v2
	v_fma_f32 v3, v47, s6, -v107
	v_add_f32_e32 v4, v5, v4
	v_fma_f32 v5, v47, s10, -v119
	v_add_f32_e32 v6, v7, v6
	v_fma_f32 v7, v47, s7, -v63
	v_add_f32_e32 v55, v34, v55
	v_fma_f32 v67, v41, s6, -v53
	;; [unrolled: 9-line block ×3, first 2 shown]
	v_mul_f32_e32 v58, 0xbf6f5d39, v58
	v_add_f32_e32 v2, v3, v2
	v_fma_f32 v3, v54, s12, -v109
	v_fmac_f32_e32 v110, 0xbf788fa5, v40
	v_add_f32_e32 v4, v5, v4
	v_fma_f32 v5, v54, s7, -v127
	v_fmac_f32_e32 v121, 0xbf3f9e67, v40
	;; [unrolled: 3-line block ×3, first 2 shown]
	v_add_f32_e32 v55, v67, v55
	v_fma_f32 v67, v46, s7, -v58
	v_mul_f32_e32 v65, 0xbf29c268, v65
	v_add_f32_e32 v3, v3, v2
	v_add_f32_e32 v2, v34, v110
	v_fmac_f32_e32 v111, 0x3f62ad3f, v41
	v_add_f32_e32 v5, v5, v4
	v_add_f32_e32 v4, v34, v121
	v_fmac_f32_e32 v122, 0x3df6dbef, v41
	;; [unrolled: 3-line block ×3, first 2 shown]
	v_add_f32_e32 v55, v67, v55
	v_fma_f32 v67, v48, s11, -v65
	v_add_f32_e32 v2, v111, v2
	v_fmac_f32_e32 v112, 0xbf3f9e67, v42
	v_add_f32_e32 v4, v122, v4
	v_fmac_f32_e32 v123, 0x3f116cb1, v42
	v_add_f32_e32 v6, v53, v6
	v_fmac_f32_e32 v52, 0x3df6dbef, v42
	v_add_f32_e32 v55, v67, v55
	v_mul_f32_e32 v67, 0xbe750f2a, v68
	v_add_f32_e32 v2, v112, v2
	v_fmac_f32_e32 v113, 0x3f116cb1, v46
	v_add_f32_e32 v4, v123, v4
	v_fmac_f32_e32 v124, 0xbf788fa5, v46
	;; [unrolled: 2-line block ×3, first 2 shown]
	v_fma_f32 v68, v50, s10, -v67
	v_add_f32_e32 v2, v113, v2
	v_fmac_f32_e32 v114, 0xbeb58ec6, v48
	v_add_f32_e32 v4, v124, v4
	v_fmac_f32_e32 v125, 0x3f62ad3f, v48
	;; [unrolled: 2-line block ×3, first 2 shown]
	v_mul_u32_u24_e32 v8, 0x68, v24
	v_add_f32_e32 v55, v68, v55
	v_add_f32_e32 v2, v114, v2
	v_fmac_f32_e32 v115, 0x3df6dbef, v50
	v_add_f32_e32 v4, v125, v4
	v_fmac_f32_e32 v128, 0xbeb58ec6, v50
	;; [unrolled: 2-line block ×3, first 2 shown]
	v_add3_u32 v8, 0, v8, v38
	v_add_f32_e32 v77, v83, v82
	v_add_f32_e32 v76, v80, v76
	;; [unrolled: 1-line block ×5, first 2 shown]
	ds_write2_b64 v8, v[0:1], v[55:56] offset1:1
	ds_write2_b64 v8, v[61:62], v[76:77] offset0:2 offset1:3
	ds_write2_b64 v8, v[88:89], v[102:103] offset0:4 offset1:5
	;; [unrolled: 1-line block ×5, first 2 shown]
	ds_write_b64 v8, v[6:7] offset:96
.LBB0_18:
	s_or_b64 exec, exec, s[4:5]
	v_add_u32_e32 v0, 0x400, v25
	s_waitcnt lgkmcnt(0)
	s_barrier
	ds_read_b64 v[16:17], v37
	ds_read2_b64 v[4:7], v25 offset0:130 offset1:169
	ds_read2_b64 v[8:11], v0 offset0:80 offset1:132
	;; [unrolled: 1-line block ×4, first 2 shown]
	v_cmp_gt_u32_e64 s[0:1], 13, v24
	s_and_saveexec_b64 s[4:5], s[0:1]
	s_cbranch_execz .LBB0_20
; %bb.19:
	ds_read2_b64 v[18:21], v25 offset0:117 offset1:247
	ds_read_b64 v[28:29], v25 offset:3016
	s_waitcnt lgkmcnt(1)
	v_mov_b32_e32 v33, v19
	v_mov_b32_e32 v32, v18
	;; [unrolled: 1-line block ×4, first 2 shown]
.LBB0_20:
	s_or_b64 exec, exec, s[4:5]
	s_movk_i32 s6, 0x4f
	v_mul_lo_u16_sdwa v18, v24, s6 dst_sel:DWORD dst_unused:UNUSED_PAD src0_sel:BYTE_0 src1_sel:DWORD
	v_add_u16_e32 v19, 39, v24
	v_lshrrev_b16_e32 v23, 10, v18
	v_mul_lo_u16_sdwa v20, v19, s6 dst_sel:DWORD dst_unused:UNUSED_PAD src0_sel:BYTE_0 src1_sel:DWORD
	v_mul_lo_u16_e32 v18, 13, v23
	v_lshrrev_b16_e32 v47, 10, v20
	v_sub_u16_e32 v34, v24, v18
	v_mov_b32_e32 v18, 4
	v_mul_lo_u16_e32 v20, 13, v47
	v_lshlrev_b32_sdwa v35, v18, v34 dst_sel:DWORD dst_unused:UNUSED_PAD src0_sel:DWORD src1_sel:BYTE_0
	v_sub_u16_e32 v48, v19, v20
	v_lshlrev_b32_sdwa v43, v18, v48 dst_sel:DWORD dst_unused:UNUSED_PAD src0_sel:DWORD src1_sel:BYTE_0
	global_load_dwordx4 v[19:22], v35, s[8:9]
	global_load_dwordx4 v[39:42], v43, s[8:9]
	v_add_u16_e32 v35, 0x4e, v24
	v_mul_lo_u16_sdwa v43, v35, s6 dst_sel:DWORD dst_unused:UNUSED_PAD src0_sel:BYTE_0 src1_sel:DWORD
	v_lshrrev_b16_e32 v49, 10, v43
	v_mul_lo_u16_e32 v43, 13, v49
	v_sub_u16_e32 v35, v35, v43
	v_lshlrev_b32_sdwa v43, v18, v35 dst_sel:DWORD dst_unused:UNUSED_PAD src0_sel:DWORD src1_sel:BYTE_0
	global_load_dwordx4 v[43:46], v43, s[8:9]
	s_movk_i32 s4, 0x138
	s_waitcnt vmcnt(0) lgkmcnt(0)
	s_barrier
	v_mul_f32_e32 v50, v20, v5
	v_mul_f32_e32 v20, v20, v4
	;; [unrolled: 1-line block ×7, first 2 shown]
	v_fma_f32 v4, v19, v4, -v50
	v_fmac_f32_e32 v20, v19, v5
	v_fma_f32 v5, v21, v10, -v51
	v_mul_f32_e32 v42, v42, v12
	v_mul_f32_e32 v54, v44, v9
	;; [unrolled: 1-line block ×5, first 2 shown]
	v_fmac_f32_e32 v22, v21, v11
	v_fma_f32 v6, v39, v6, -v52
	v_fmac_f32_e32 v40, v39, v7
	v_fma_f32 v7, v41, v12, -v53
	v_add_f32_e32 v11, v4, v5
	v_fmac_f32_e32 v42, v41, v13
	v_fma_f32 v8, v43, v8, -v54
	v_fmac_f32_e32 v44, v43, v9
	v_fma_f32 v10, v45, v14, -v55
	v_fmac_f32_e32 v46, v45, v15
	v_add_f32_e32 v9, v16, v4
	v_add_f32_e32 v12, v17, v20
	;; [unrolled: 1-line block ×4, first 2 shown]
	v_fma_f32 v16, -0.5, v11, v16
	v_sub_f32_e32 v21, v20, v22
	v_sub_f32_e32 v39, v4, v5
	v_add_f32_e32 v14, v0, v6
	v_add_f32_e32 v20, v40, v42
	;; [unrolled: 1-line block ×4, first 2 shown]
	v_sub_f32_e32 v52, v8, v10
	v_add_f32_e32 v4, v9, v5
	v_add_f32_e32 v5, v12, v22
	v_fmac_f32_e32 v17, -0.5, v13
	v_fma_f32 v8, -0.5, v15, v0
	v_mov_b32_e32 v12, v16
	v_mov_b32_e32 v0, 3
	v_add_f32_e32 v19, v1, v40
	v_fma_f32 v9, -0.5, v20, v1
	v_fmac_f32_e32 v16, 0xbf5db3d7, v21
	v_mov_b32_e32 v13, v17
	v_fmac_f32_e32 v12, 0x3f5db3d7, v21
	v_mad_u32_u24 v1, v23, s4, 0
	v_lshlrev_b32_sdwa v21, v0, v34 dst_sel:DWORD dst_unused:UNUSED_PAD src0_sel:DWORD src1_sel:BYTE_0
	v_fmac_f32_e32 v13, 0xbf5db3d7, v39
	v_add3_u32 v1, v1, v21, v38
	v_sub_f32_e32 v41, v40, v42
	v_sub_f32_e32 v40, v6, v7
	;; [unrolled: 1-line block ×3, first 2 shown]
	v_add_f32_e32 v51, v3, v44
	v_add_f32_e32 v44, v44, v46
	;; [unrolled: 1-line block ×3, first 2 shown]
	v_fmac_f32_e32 v17, 0x3f5db3d7, v39
	v_mov_b32_e32 v14, v8
	v_mov_b32_e32 v15, v9
	ds_write2_b64 v1, v[4:5], v[12:13] offset1:13
	ds_write_b64 v1, v[16:17] offset:208
	v_mad_u32_u24 v1, v47, s4, 0
	v_lshlrev_b32_sdwa v4, v0, v48 dst_sel:DWORD dst_unused:UNUSED_PAD src0_sel:DWORD src1_sel:BYTE_0
	v_add_f32_e32 v7, v19, v42
	v_fma_f32 v2, -0.5, v45, v2
	v_fmac_f32_e32 v3, -0.5, v44
	v_fmac_f32_e32 v14, 0x3f5db3d7, v41
	v_fmac_f32_e32 v15, 0xbf5db3d7, v40
	v_add3_u32 v1, v1, v4, v38
	v_fmac_f32_e32 v8, 0xbf5db3d7, v41
	v_fmac_f32_e32 v9, 0x3f5db3d7, v40
	v_mov_b32_e32 v19, v2
	v_mov_b32_e32 v20, v3
	ds_write2_b64 v1, v[6:7], v[14:15] offset1:13
	ds_write_b64 v1, v[8:9] offset:208
	v_mad_u32_u24 v1, v49, s4, 0
	v_lshlrev_b32_sdwa v4, v0, v35 dst_sel:DWORD dst_unused:UNUSED_PAD src0_sel:DWORD src1_sel:BYTE_0
	v_add_f32_e32 v10, v43, v10
	v_add_f32_e32 v11, v51, v46
	v_fmac_f32_e32 v19, 0x3f5db3d7, v50
	v_fmac_f32_e32 v20, 0xbf5db3d7, v52
	v_add3_u32 v1, v1, v4, v38
	v_fmac_f32_e32 v2, 0xbf5db3d7, v50
	v_fmac_f32_e32 v3, 0x3f5db3d7, v52
	ds_write2_b64 v1, v[10:11], v[19:20] offset1:13
	ds_write_b64 v1, v[2:3] offset:208
	s_and_saveexec_b64 s[4:5], s[0:1]
	s_cbranch_execz .LBB0_22
; %bb.21:
	v_add_u16_e32 v1, 0x75, v24
	v_mul_lo_u16_sdwa v2, v1, s6 dst_sel:DWORD dst_unused:UNUSED_PAD src0_sel:BYTE_0 src1_sel:DWORD
	v_lshrrev_b16_e32 v2, 10, v2
	v_mul_lo_u16_e32 v2, 13, v2
	v_sub_u16_e32 v5, v1, v2
	v_lshlrev_b32_sdwa v1, v18, v5 dst_sel:DWORD dst_unused:UNUSED_PAD src0_sel:DWORD src1_sel:BYTE_0
	global_load_dwordx4 v[1:4], v1, s[8:9]
	v_lshlrev_b32_sdwa v0, v0, v5 dst_sel:DWORD dst_unused:UNUSED_PAD src0_sel:DWORD src1_sel:BYTE_0
	v_add3_u32 v6, 0, v0, v38
	v_add_u32_e32 v7, 0x800, v6
	s_waitcnt vmcnt(0)
	v_mul_f32_e32 v0, v31, v2
	v_mul_f32_e32 v5, v29, v4
	;; [unrolled: 1-line block ×4, first 2 shown]
	v_fma_f32 v0, v30, v1, -v0
	v_fma_f32 v5, v28, v3, -v5
	v_fmac_f32_e32 v2, v31, v1
	v_fmac_f32_e32 v4, v29, v3
	v_add_f32_e32 v1, v2, v4
	v_add_f32_e32 v9, v0, v5
	v_sub_f32_e32 v8, v0, v5
	v_add_f32_e32 v3, v33, v2
	v_sub_f32_e32 v10, v2, v4
	v_add_f32_e32 v2, v32, v0
	v_fma_f32 v1, -0.5, v1, v33
	v_fma_f32 v0, -0.5, v9, v32
	v_add_f32_e32 v3, v3, v4
	v_add_f32_e32 v2, v2, v5
	v_mov_b32_e32 v5, v1
	v_fmac_f32_e32 v1, 0xbf5db3d7, v8
	v_mov_b32_e32 v4, v0
	v_fmac_f32_e32 v0, 0x3f5db3d7, v10
	v_fmac_f32_e32 v5, 0x3f5db3d7, v8
	;; [unrolled: 1-line block ×3, first 2 shown]
	ds_write2_b64 v7, v[2:3], v[0:1] offset0:95 offset1:108
	ds_write_b64 v6, v[4:5] offset:3016
.LBB0_22:
	s_or_b64 exec, exec, s[4:5]
	v_mul_u32_u24_e32 v0, 9, v24
	v_lshlrev_b32_e32 v16, 3, v0
	s_waitcnt lgkmcnt(0)
	s_barrier
	global_load_dwordx4 v[0:3], v16, s[8:9] offset:208
	global_load_dwordx4 v[4:7], v16, s[8:9] offset:224
	;; [unrolled: 1-line block ×4, first 2 shown]
	global_load_dwordx2 v[38:39], v16, s[8:9] offset:272
	v_add_u32_e32 v44, 0x800, v25
	ds_read2_b64 v[16:19], v25 offset0:39 offset1:78
	ds_read2_b64 v[20:23], v25 offset0:117 offset1:156
	;; [unrolled: 1-line block ×3, first 2 shown]
	ds_read_b64 v[40:41], v37
	ds_read_b64 v[42:43], v25 offset:2808
	ds_read2_b64 v[32:35], v44 offset0:17 offset1:56
	s_mov_b32 s4, 0x3f737871
	s_mov_b32 s5, 0x3f167918
	;; [unrolled: 1-line block ×4, first 2 shown]
	s_waitcnt vmcnt(0) lgkmcnt(0)
	s_barrier
	v_mul_f32_e32 v37, v1, v17
	v_mul_f32_e32 v45, v1, v16
	;; [unrolled: 1-line block ×11, first 2 shown]
	v_fma_f32 v16, v0, v16, -v37
	v_fmac_f32_e32 v45, v0, v17
	v_fma_f32 v0, v2, v18, -v1
	v_fmac_f32_e32 v3, v2, v19
	;; [unrolled: 2-line block ×4, first 2 shown]
	v_fma_f32 v10, v34, v14, -v51
	v_mul_f32_e32 v48, v9, v29
	v_mul_f32_e32 v9, v9, v28
	;; [unrolled: 1-line block ×3, first 2 shown]
	v_fma_f32 v1, v4, v20, -v46
	v_fmac_f32_e32 v5, v4, v21
	v_add_f32_e32 v17, v2, v6
	v_sub_f32_e32 v20, v0, v2
	v_sub_f32_e32 v21, v10, v6
	v_add_f32_e32 v22, v0, v10
	v_fma_f32 v4, v8, v28, -v48
	v_fmac_f32_e32 v9, v8, v29
	v_fmac_f32_e32 v15, v35, v14
	v_sub_f32_e32 v23, v2, v0
	v_sub_f32_e32 v28, v6, v10
	v_add_f32_e32 v29, v41, v3
	v_fma_f32 v17, -0.5, v17, v40
	v_add_f32_e32 v20, v20, v21
	v_fma_f32 v21, -0.5, v22, v40
	v_sub_f32_e32 v18, v3, v15
	v_sub_f32_e32 v19, v7, v11
	v_add_f32_e32 v22, v23, v28
	v_add_f32_e32 v23, v29, v7
	v_mov_b32_e32 v28, v17
	v_mov_b32_e32 v29, v21
	v_fmac_f32_e32 v17, 0xbf737871, v18
	v_fmac_f32_e32 v21, 0x3f737871, v19
	;; [unrolled: 1-line block ×4, first 2 shown]
	v_add_f32_e32 v14, v40, v0
	v_fmac_f32_e32 v17, 0xbf167918, v19
	v_fmac_f32_e32 v21, 0xbf167918, v18
	;; [unrolled: 1-line block ×4, first 2 shown]
	v_add_f32_e32 v18, v7, v11
	v_add_f32_e32 v14, v14, v2
	v_fmac_f32_e32 v17, 0x3e9e377a, v20
	v_fmac_f32_e32 v28, 0x3e9e377a, v20
	v_fma_f32 v20, -0.5, v18, v41
	v_add_f32_e32 v14, v14, v6
	v_fmac_f32_e32 v21, 0x3e9e377a, v22
	v_fmac_f32_e32 v29, 0x3e9e377a, v22
	v_sub_f32_e32 v0, v0, v10
	v_mov_b32_e32 v22, v20
	v_add_f32_e32 v14, v14, v10
	v_fmac_f32_e32 v22, 0xbf737871, v0
	v_sub_f32_e32 v2, v2, v6
	v_sub_f32_e32 v6, v3, v7
	;; [unrolled: 1-line block ×3, first 2 shown]
	v_fmac_f32_e32 v20, 0x3f737871, v0
	v_fmac_f32_e32 v22, 0xbf167918, v2
	v_add_f32_e32 v6, v6, v10
	v_fmac_f32_e32 v20, 0x3f167918, v2
	v_fmac_f32_e32 v22, 0x3e9e377a, v6
	;; [unrolled: 1-line block ×3, first 2 shown]
	v_add_f32_e32 v6, v3, v15
	v_add_f32_e32 v23, v23, v11
	v_fmac_f32_e32 v41, -0.5, v6
	v_add_f32_e32 v19, v23, v15
	v_mov_b32_e32 v23, v41
	v_fmac_f32_e32 v23, 0x3f737871, v2
	v_fmac_f32_e32 v41, 0xbf737871, v2
	v_mul_f32_e32 v50, v33, v13
	v_fmac_f32_e32 v23, 0xbf167918, v0
	v_fmac_f32_e32 v41, 0x3f167918, v0
	v_add_f32_e32 v0, v16, v1
	v_mul_f32_e32 v13, v32, v13
	v_mul_f32_e32 v52, v43, v39
	v_fma_f32 v8, v32, v12, -v50
	v_add_f32_e32 v0, v0, v4
	v_fmac_f32_e32 v13, v33, v12
	v_fma_f32 v12, v42, v38, -v52
	v_add_f32_e32 v0, v0, v8
	v_mul_f32_e32 v39, v42, v39
	v_sub_f32_e32 v3, v7, v3
	v_sub_f32_e32 v6, v11, v15
	v_add_f32_e32 v10, v0, v12
	v_add_f32_e32 v0, v4, v8
	v_fmac_f32_e32 v39, v43, v38
	v_add_f32_e32 v3, v3, v6
	v_fma_f32 v11, -0.5, v0, v16
	v_fmac_f32_e32 v23, 0x3e9e377a, v3
	v_fmac_f32_e32 v41, 0x3e9e377a, v3
	v_sub_f32_e32 v0, v5, v39
	v_mov_b32_e32 v3, v11
	v_fmac_f32_e32 v3, 0x3f737871, v0
	v_sub_f32_e32 v2, v9, v13
	v_sub_f32_e32 v6, v1, v4
	;; [unrolled: 1-line block ×3, first 2 shown]
	v_fmac_f32_e32 v11, 0xbf737871, v0
	v_fmac_f32_e32 v3, 0x3f167918, v2
	v_add_f32_e32 v6, v6, v7
	v_fmac_f32_e32 v11, 0xbf167918, v2
	v_fmac_f32_e32 v3, 0x3e9e377a, v6
	;; [unrolled: 1-line block ×3, first 2 shown]
	v_add_f32_e32 v6, v1, v12
	v_fmac_f32_e32 v16, -0.5, v6
	v_mov_b32_e32 v7, v16
	v_fmac_f32_e32 v7, 0xbf737871, v2
	v_fmac_f32_e32 v16, 0x3f737871, v2
	;; [unrolled: 1-line block ×4, first 2 shown]
	v_add_f32_e32 v0, v45, v5
	v_add_f32_e32 v0, v0, v9
	v_sub_f32_e32 v6, v4, v1
	v_sub_f32_e32 v15, v8, v12
	v_add_f32_e32 v0, v0, v13
	v_add_f32_e32 v6, v6, v15
	;; [unrolled: 1-line block ×4, first 2 shown]
	v_fma_f32 v18, -0.5, v0, v45
	v_sub_f32_e32 v0, v1, v12
	v_mov_b32_e32 v12, v18
	v_fmac_f32_e32 v12, 0xbf737871, v0
	v_sub_f32_e32 v1, v4, v8
	v_sub_f32_e32 v2, v5, v9
	;; [unrolled: 1-line block ×3, first 2 shown]
	v_fmac_f32_e32 v18, 0x3f737871, v0
	v_fmac_f32_e32 v12, 0xbf167918, v1
	v_add_f32_e32 v2, v2, v4
	v_fmac_f32_e32 v18, 0x3f167918, v1
	v_fmac_f32_e32 v12, 0x3e9e377a, v2
	v_fmac_f32_e32 v18, 0x3e9e377a, v2
	v_add_f32_e32 v2, v5, v39
	v_fmac_f32_e32 v45, -0.5, v2
	v_mov_b32_e32 v30, v45
	v_fmac_f32_e32 v30, 0x3f737871, v1
	v_sub_f32_e32 v2, v9, v5
	v_sub_f32_e32 v4, v13, v39
	v_fmac_f32_e32 v30, 0xbf167918, v0
	v_add_f32_e32 v2, v2, v4
	v_fmac_f32_e32 v45, 0xbf737871, v1
	v_fmac_f32_e32 v16, 0x3e9e377a, v6
	;; [unrolled: 1-line block ×6, first 2 shown]
	v_mul_f32_e32 v13, 0x3f167918, v12
	v_mul_f32_e32 v31, 0x3f737871, v30
	;; [unrolled: 1-line block ×4, first 2 shown]
	v_fmac_f32_e32 v13, 0x3f4f1bbd, v3
	v_fmac_f32_e32 v31, 0x3e9e377a, v7
	v_fma_f32 v32, v45, s4, -v1
	v_mul_f32_e32 v1, 0x3f4f1bbd, v11
	v_fmac_f32_e32 v34, 0x3f4f1bbd, v12
	v_mul_f32_e32 v35, 0xbf737871, v7
	v_mul_f32_e32 v7, 0x3e9e377a, v45
	;; [unrolled: 1-line block ×3, first 2 shown]
	v_add_f32_e32 v0, v14, v10
	v_add_f32_e32 v2, v28, v13
	v_fma_f32 v33, v18, s5, -v1
	v_add_f32_e32 v1, v19, v15
	v_add_f32_e32 v3, v22, v34
	v_fmac_f32_e32 v35, 0x3e9e377a, v30
	v_fma_f32 v30, v16, s0, -v7
	v_fma_f32 v37, v11, s1, -v9
	v_add_f32_e32 v4, v29, v31
	v_add_f32_e32 v6, v21, v32
	;; [unrolled: 1-line block ×6, first 2 shown]
	v_sub_f32_e32 v10, v14, v10
	v_sub_f32_e32 v12, v28, v13
	;; [unrolled: 1-line block ×6, first 2 shown]
	ds_write2_b64 v25, v[0:1], v[2:3] offset1:39
	ds_write2_b64 v25, v[4:5], v[6:7] offset0:78 offset1:117
	ds_write2_b64 v25, v[8:9], v[10:11] offset0:156 offset1:195
	v_add_u32_e32 v0, 0x400, v25
	v_sub_f32_e32 v16, v21, v32
	v_sub_f32_e32 v18, v17, v33
	;; [unrolled: 1-line block ×4, first 2 shown]
	ds_write2_b64 v0, v[12:13], v[14:15] offset0:106 offset1:145
	ds_write2_b64 v44, v[16:17], v[18:19] offset0:56 offset1:95
	s_waitcnt lgkmcnt(0)
	s_barrier
	s_and_saveexec_b64 s[0:1], vcc
	s_cbranch_execz .LBB0_24
; %bb.23:
	v_lshl_add_u32 v6, v24, 3, v36
	v_mov_b32_e32 v25, 0
	ds_read2_b64 v[0:3], v6 offset1:39
	v_mov_b32_e32 v4, s3
	v_add_co_u32_e32 v7, vcc, s2, v26
	v_addc_co_u32_e32 v8, vcc, v4, v27, vcc
	v_lshlrev_b64 v[4:5], 3, v[24:25]
	v_add_co_u32_e32 v4, vcc, v7, v4
	v_addc_co_u32_e32 v5, vcc, v8, v5, vcc
	s_waitcnt lgkmcnt(0)
	global_store_dwordx2 v[4:5], v[0:1], off
	v_add_u32_e32 v0, 39, v24
	v_mov_b32_e32 v1, v25
	v_lshlrev_b64 v[0:1], 3, v[0:1]
	v_add_u32_e32 v4, 0x4e, v24
	v_add_co_u32_e32 v0, vcc, v7, v0
	v_addc_co_u32_e32 v1, vcc, v8, v1, vcc
	global_store_dwordx2 v[0:1], v[2:3], off
	v_mov_b32_e32 v5, v25
	ds_read2_b64 v[0:3], v6 offset0:78 offset1:117
	v_lshlrev_b64 v[4:5], 3, v[4:5]
	v_add_co_u32_e32 v4, vcc, v7, v4
	v_addc_co_u32_e32 v5, vcc, v8, v5, vcc
	s_waitcnt lgkmcnt(0)
	global_store_dwordx2 v[4:5], v[0:1], off
	v_add_u32_e32 v0, 0x75, v24
	v_mov_b32_e32 v1, v25
	v_lshlrev_b64 v[0:1], 3, v[0:1]
	v_add_u32_e32 v4, 0x9c, v24
	v_add_co_u32_e32 v0, vcc, v7, v0
	v_addc_co_u32_e32 v1, vcc, v8, v1, vcc
	global_store_dwordx2 v[0:1], v[2:3], off
	v_mov_b32_e32 v5, v25
	ds_read2_b64 v[0:3], v6 offset0:156 offset1:195
	v_lshlrev_b64 v[4:5], 3, v[4:5]
	v_add_co_u32_e32 v4, vcc, v7, v4
	v_addc_co_u32_e32 v5, vcc, v8, v5, vcc
	s_waitcnt lgkmcnt(0)
	global_store_dwordx2 v[4:5], v[0:1], off
	v_add_u32_e32 v0, 0xc3, v24
	v_mov_b32_e32 v1, v25
	v_lshlrev_b64 v[0:1], 3, v[0:1]
	v_add_u32_e32 v4, 0xea, v24
	v_add_co_u32_e32 v0, vcc, v7, v0
	v_addc_co_u32_e32 v1, vcc, v8, v1, vcc
	global_store_dwordx2 v[0:1], v[2:3], off
	v_add_u32_e32 v0, 0x400, v6
	v_mov_b32_e32 v5, v25
	ds_read2_b64 v[0:3], v0 offset0:106 offset1:145
	v_lshlrev_b64 v[4:5], 3, v[4:5]
	v_add_co_u32_e32 v4, vcc, v7, v4
	v_addc_co_u32_e32 v5, vcc, v8, v5, vcc
	s_waitcnt lgkmcnt(0)
	global_store_dwordx2 v[4:5], v[0:1], off
	v_add_u32_e32 v0, 0x111, v24
	v_mov_b32_e32 v1, v25
	v_lshlrev_b64 v[0:1], 3, v[0:1]
	v_add_u32_e32 v4, 0x138, v24
	v_add_co_u32_e32 v0, vcc, v7, v0
	v_addc_co_u32_e32 v1, vcc, v8, v1, vcc
	global_store_dwordx2 v[0:1], v[2:3], off
	v_add_u32_e32 v0, 0x800, v6
	v_mov_b32_e32 v5, v25
	ds_read2_b64 v[0:3], v0 offset0:56 offset1:95
	v_lshlrev_b64 v[4:5], 3, v[4:5]
	v_add_u32_e32 v24, 0x15f, v24
	v_add_co_u32_e32 v4, vcc, v7, v4
	v_addc_co_u32_e32 v5, vcc, v8, v5, vcc
	s_waitcnt lgkmcnt(0)
	global_store_dwordx2 v[4:5], v[0:1], off
	v_lshlrev_b64 v[0:1], 3, v[24:25]
	v_add_co_u32_e32 v0, vcc, v7, v0
	v_addc_co_u32_e32 v1, vcc, v8, v1, vcc
	global_store_dwordx2 v[0:1], v[2:3], off
.LBB0_24:
	s_endpgm
	.section	.rodata,"a",@progbits
	.p2align	6, 0x0
	.amdhsa_kernel fft_rtc_fwd_len390_factors_13_3_10_wgs_117_tpt_39_sp_ip_CI_unitstride_sbrr_C2R_dirReg
		.amdhsa_group_segment_fixed_size 0
		.amdhsa_private_segment_fixed_size 0
		.amdhsa_kernarg_size 88
		.amdhsa_user_sgpr_count 6
		.amdhsa_user_sgpr_private_segment_buffer 1
		.amdhsa_user_sgpr_dispatch_ptr 0
		.amdhsa_user_sgpr_queue_ptr 0
		.amdhsa_user_sgpr_kernarg_segment_ptr 1
		.amdhsa_user_sgpr_dispatch_id 0
		.amdhsa_user_sgpr_flat_scratch_init 0
		.amdhsa_user_sgpr_private_segment_size 0
		.amdhsa_uses_dynamic_stack 0
		.amdhsa_system_sgpr_private_segment_wavefront_offset 0
		.amdhsa_system_sgpr_workgroup_id_x 1
		.amdhsa_system_sgpr_workgroup_id_y 0
		.amdhsa_system_sgpr_workgroup_id_z 0
		.amdhsa_system_sgpr_workgroup_info 0
		.amdhsa_system_vgpr_workitem_id 0
		.amdhsa_next_free_vgpr 129
		.amdhsa_next_free_sgpr 22
		.amdhsa_reserve_vcc 1
		.amdhsa_reserve_flat_scratch 0
		.amdhsa_float_round_mode_32 0
		.amdhsa_float_round_mode_16_64 0
		.amdhsa_float_denorm_mode_32 3
		.amdhsa_float_denorm_mode_16_64 3
		.amdhsa_dx10_clamp 1
		.amdhsa_ieee_mode 1
		.amdhsa_fp16_overflow 0
		.amdhsa_exception_fp_ieee_invalid_op 0
		.amdhsa_exception_fp_denorm_src 0
		.amdhsa_exception_fp_ieee_div_zero 0
		.amdhsa_exception_fp_ieee_overflow 0
		.amdhsa_exception_fp_ieee_underflow 0
		.amdhsa_exception_fp_ieee_inexact 0
		.amdhsa_exception_int_div_zero 0
	.end_amdhsa_kernel
	.text
.Lfunc_end0:
	.size	fft_rtc_fwd_len390_factors_13_3_10_wgs_117_tpt_39_sp_ip_CI_unitstride_sbrr_C2R_dirReg, .Lfunc_end0-fft_rtc_fwd_len390_factors_13_3_10_wgs_117_tpt_39_sp_ip_CI_unitstride_sbrr_C2R_dirReg
                                        ; -- End function
	.section	.AMDGPU.csdata,"",@progbits
; Kernel info:
; codeLenInByte = 7972
; NumSgprs: 26
; NumVgprs: 129
; ScratchSize: 0
; MemoryBound: 0
; FloatMode: 240
; IeeeMode: 1
; LDSByteSize: 0 bytes/workgroup (compile time only)
; SGPRBlocks: 3
; VGPRBlocks: 32
; NumSGPRsForWavesPerEU: 26
; NumVGPRsForWavesPerEU: 129
; Occupancy: 1
; WaveLimiterHint : 1
; COMPUTE_PGM_RSRC2:SCRATCH_EN: 0
; COMPUTE_PGM_RSRC2:USER_SGPR: 6
; COMPUTE_PGM_RSRC2:TRAP_HANDLER: 0
; COMPUTE_PGM_RSRC2:TGID_X_EN: 1
; COMPUTE_PGM_RSRC2:TGID_Y_EN: 0
; COMPUTE_PGM_RSRC2:TGID_Z_EN: 0
; COMPUTE_PGM_RSRC2:TIDIG_COMP_CNT: 0
	.type	__hip_cuid_7b51f6288d603fa2,@object ; @__hip_cuid_7b51f6288d603fa2
	.section	.bss,"aw",@nobits
	.globl	__hip_cuid_7b51f6288d603fa2
__hip_cuid_7b51f6288d603fa2:
	.byte	0                               ; 0x0
	.size	__hip_cuid_7b51f6288d603fa2, 1

	.ident	"AMD clang version 19.0.0git (https://github.com/RadeonOpenCompute/llvm-project roc-6.4.0 25133 c7fe45cf4b819c5991fe208aaa96edf142730f1d)"
	.section	".note.GNU-stack","",@progbits
	.addrsig
	.addrsig_sym __hip_cuid_7b51f6288d603fa2
	.amdgpu_metadata
---
amdhsa.kernels:
  - .args:
      - .actual_access:  read_only
        .address_space:  global
        .offset:         0
        .size:           8
        .value_kind:     global_buffer
      - .offset:         8
        .size:           8
        .value_kind:     by_value
      - .actual_access:  read_only
        .address_space:  global
        .offset:         16
        .size:           8
        .value_kind:     global_buffer
      - .actual_access:  read_only
        .address_space:  global
        .offset:         24
        .size:           8
        .value_kind:     global_buffer
      - .offset:         32
        .size:           8
        .value_kind:     by_value
      - .actual_access:  read_only
        .address_space:  global
        .offset:         40
        .size:           8
        .value_kind:     global_buffer
      - .actual_access:  read_only
        .address_space:  global
        .offset:         48
        .size:           8
        .value_kind:     global_buffer
      - .offset:         56
        .size:           4
        .value_kind:     by_value
      - .actual_access:  read_only
        .address_space:  global
        .offset:         64
        .size:           8
        .value_kind:     global_buffer
      - .actual_access:  read_only
        .address_space:  global
        .offset:         72
        .size:           8
        .value_kind:     global_buffer
      - .address_space:  global
        .offset:         80
        .size:           8
        .value_kind:     global_buffer
    .group_segment_fixed_size: 0
    .kernarg_segment_align: 8
    .kernarg_segment_size: 88
    .language:       OpenCL C
    .language_version:
      - 2
      - 0
    .max_flat_workgroup_size: 117
    .name:           fft_rtc_fwd_len390_factors_13_3_10_wgs_117_tpt_39_sp_ip_CI_unitstride_sbrr_C2R_dirReg
    .private_segment_fixed_size: 0
    .sgpr_count:     26
    .sgpr_spill_count: 0
    .symbol:         fft_rtc_fwd_len390_factors_13_3_10_wgs_117_tpt_39_sp_ip_CI_unitstride_sbrr_C2R_dirReg.kd
    .uniform_work_group_size: 1
    .uses_dynamic_stack: false
    .vgpr_count:     129
    .vgpr_spill_count: 0
    .wavefront_size: 64
amdhsa.target:   amdgcn-amd-amdhsa--gfx906
amdhsa.version:
  - 1
  - 2
...

	.end_amdgpu_metadata
